;; amdgpu-corpus repo=ROCm/rocFFT kind=compiled arch=gfx1030 opt=O3
	.text
	.amdgcn_target "amdgcn-amd-amdhsa--gfx1030"
	.amdhsa_code_object_version 6
	.protected	fft_rtc_back_len4096_factors_16_16_16_wgs_256_tpt_256_halfLds_sp_op_CI_CI_unitstride_sbrr_C2R_dirReg ; -- Begin function fft_rtc_back_len4096_factors_16_16_16_wgs_256_tpt_256_halfLds_sp_op_CI_CI_unitstride_sbrr_C2R_dirReg
	.globl	fft_rtc_back_len4096_factors_16_16_16_wgs_256_tpt_256_halfLds_sp_op_CI_CI_unitstride_sbrr_C2R_dirReg
	.p2align	8
	.type	fft_rtc_back_len4096_factors_16_16_16_wgs_256_tpt_256_halfLds_sp_op_CI_CI_unitstride_sbrr_C2R_dirReg,@function
fft_rtc_back_len4096_factors_16_16_16_wgs_256_tpt_256_halfLds_sp_op_CI_CI_unitstride_sbrr_C2R_dirReg: ; @fft_rtc_back_len4096_factors_16_16_16_wgs_256_tpt_256_halfLds_sp_op_CI_CI_unitstride_sbrr_C2R_dirReg
; %bb.0:
	s_clause 0x2
	s_load_dwordx4 s[12:15], s[4:5], 0x0
	s_load_dwordx4 s[8:11], s[4:5], 0x58
	;; [unrolled: 1-line block ×3, first 2 shown]
	v_mov_b32_e32 v8, 0
	v_mov_b32_e32 v6, 0
	v_mov_b32_e32 v10, s6
	v_mov_b32_e32 v7, 0
	v_mov_b32_e32 v11, v8
	s_waitcnt lgkmcnt(0)
	v_cmp_lt_u64_e64 s0, s[14:15], 2
	s_and_b32 vcc_lo, exec_lo, s0
	s_cbranch_vccnz .LBB0_8
; %bb.1:
	s_load_dwordx2 s[0:1], s[4:5], 0x10
	v_mov_b32_e32 v6, 0
	v_mov_b32_e32 v7, 0
	s_add_u32 s2, s18, 8
	s_addc_u32 s3, s19, 0
	v_mov_b32_e32 v1, v6
	s_add_u32 s6, s16, 8
	v_mov_b32_e32 v2, v7
	s_addc_u32 s7, s17, 0
	s_mov_b64 s[22:23], 1
	s_waitcnt lgkmcnt(0)
	s_add_u32 s20, s0, 8
	s_addc_u32 s21, s1, 0
.LBB0_2:                                ; =>This Inner Loop Header: Depth=1
	s_load_dwordx2 s[24:25], s[20:21], 0x0
                                        ; implicit-def: $vgpr3_vgpr4
	s_mov_b32 s0, exec_lo
	s_waitcnt lgkmcnt(0)
	v_or_b32_e32 v9, s25, v11
	v_cmpx_ne_u64_e32 0, v[8:9]
	s_xor_b32 s1, exec_lo, s0
	s_cbranch_execz .LBB0_4
; %bb.3:                                ;   in Loop: Header=BB0_2 Depth=1
	v_cvt_f32_u32_e32 v3, s24
	v_cvt_f32_u32_e32 v4, s25
	s_sub_u32 s0, 0, s24
	s_subb_u32 s26, 0, s25
	v_fmac_f32_e32 v3, 0x4f800000, v4
	v_rcp_f32_e32 v3, v3
	v_mul_f32_e32 v3, 0x5f7ffffc, v3
	v_mul_f32_e32 v4, 0x2f800000, v3
	v_trunc_f32_e32 v4, v4
	v_fmac_f32_e32 v3, 0xcf800000, v4
	v_cvt_u32_f32_e32 v4, v4
	v_cvt_u32_f32_e32 v3, v3
	v_mul_lo_u32 v5, s0, v4
	v_mul_hi_u32 v9, s0, v3
	v_mul_lo_u32 v12, s26, v3
	v_add_nc_u32_e32 v5, v9, v5
	v_mul_lo_u32 v9, s0, v3
	v_add_nc_u32_e32 v5, v5, v12
	v_mul_hi_u32 v12, v3, v9
	v_mul_lo_u32 v13, v3, v5
	v_mul_hi_u32 v14, v3, v5
	v_mul_hi_u32 v15, v4, v9
	v_mul_lo_u32 v9, v4, v9
	v_mul_hi_u32 v16, v4, v5
	v_mul_lo_u32 v5, v4, v5
	v_add_co_u32 v12, vcc_lo, v12, v13
	v_add_co_ci_u32_e32 v13, vcc_lo, 0, v14, vcc_lo
	v_add_co_u32 v9, vcc_lo, v12, v9
	v_add_co_ci_u32_e32 v9, vcc_lo, v13, v15, vcc_lo
	v_add_co_ci_u32_e32 v12, vcc_lo, 0, v16, vcc_lo
	v_add_co_u32 v5, vcc_lo, v9, v5
	v_add_co_ci_u32_e32 v9, vcc_lo, 0, v12, vcc_lo
	v_add_co_u32 v3, vcc_lo, v3, v5
	v_add_co_ci_u32_e32 v4, vcc_lo, v4, v9, vcc_lo
	v_mul_hi_u32 v5, s0, v3
	v_mul_lo_u32 v12, s26, v3
	v_mul_lo_u32 v9, s0, v4
	v_add_nc_u32_e32 v5, v5, v9
	v_mul_lo_u32 v9, s0, v3
	v_add_nc_u32_e32 v5, v5, v12
	v_mul_hi_u32 v12, v3, v9
	v_mul_lo_u32 v13, v3, v5
	v_mul_hi_u32 v14, v3, v5
	v_mul_hi_u32 v15, v4, v9
	v_mul_lo_u32 v9, v4, v9
	v_mul_hi_u32 v16, v4, v5
	v_mul_lo_u32 v5, v4, v5
	v_add_co_u32 v12, vcc_lo, v12, v13
	v_add_co_ci_u32_e32 v13, vcc_lo, 0, v14, vcc_lo
	v_add_co_u32 v9, vcc_lo, v12, v9
	v_add_co_ci_u32_e32 v9, vcc_lo, v13, v15, vcc_lo
	v_add_co_ci_u32_e32 v12, vcc_lo, 0, v16, vcc_lo
	v_add_co_u32 v5, vcc_lo, v9, v5
	v_add_co_ci_u32_e32 v9, vcc_lo, 0, v12, vcc_lo
	v_add_co_u32 v5, vcc_lo, v3, v5
	v_add_co_ci_u32_e32 v9, vcc_lo, v4, v9, vcc_lo
	v_mul_hi_u32 v16, v10, v5
	v_mad_u64_u32 v[12:13], null, v11, v5, 0
	v_mad_u64_u32 v[3:4], null, v10, v9, 0
	;; [unrolled: 1-line block ×3, first 2 shown]
	v_add_co_u32 v3, vcc_lo, v16, v3
	v_add_co_ci_u32_e32 v4, vcc_lo, 0, v4, vcc_lo
	v_add_co_u32 v3, vcc_lo, v3, v12
	v_add_co_ci_u32_e32 v3, vcc_lo, v4, v13, vcc_lo
	v_add_co_ci_u32_e32 v4, vcc_lo, 0, v15, vcc_lo
	v_add_co_u32 v5, vcc_lo, v3, v14
	v_add_co_ci_u32_e32 v9, vcc_lo, 0, v4, vcc_lo
	v_mul_lo_u32 v12, s25, v5
	v_mad_u64_u32 v[3:4], null, s24, v5, 0
	v_mul_lo_u32 v13, s24, v9
	v_sub_co_u32 v3, vcc_lo, v10, v3
	v_add3_u32 v4, v4, v13, v12
	v_sub_nc_u32_e32 v12, v11, v4
	v_subrev_co_ci_u32_e64 v12, s0, s25, v12, vcc_lo
	v_add_co_u32 v13, s0, v5, 2
	v_add_co_ci_u32_e64 v14, s0, 0, v9, s0
	v_sub_co_u32 v15, s0, v3, s24
	v_sub_co_ci_u32_e32 v4, vcc_lo, v11, v4, vcc_lo
	v_subrev_co_ci_u32_e64 v12, s0, 0, v12, s0
	v_cmp_le_u32_e32 vcc_lo, s24, v15
	v_cmp_eq_u32_e64 s0, s25, v4
	v_cndmask_b32_e64 v15, 0, -1, vcc_lo
	v_cmp_le_u32_e32 vcc_lo, s25, v12
	v_cndmask_b32_e64 v16, 0, -1, vcc_lo
	v_cmp_le_u32_e32 vcc_lo, s24, v3
	;; [unrolled: 2-line block ×3, first 2 shown]
	v_cndmask_b32_e64 v17, 0, -1, vcc_lo
	v_cmp_eq_u32_e32 vcc_lo, s25, v12
	v_cndmask_b32_e64 v3, v17, v3, s0
	v_cndmask_b32_e32 v12, v16, v15, vcc_lo
	v_add_co_u32 v15, vcc_lo, v5, 1
	v_add_co_ci_u32_e32 v16, vcc_lo, 0, v9, vcc_lo
	v_cmp_ne_u32_e32 vcc_lo, 0, v12
	v_cndmask_b32_e32 v4, v16, v14, vcc_lo
	v_cndmask_b32_e32 v12, v15, v13, vcc_lo
	v_cmp_ne_u32_e32 vcc_lo, 0, v3
	v_cndmask_b32_e32 v4, v9, v4, vcc_lo
	v_cndmask_b32_e32 v3, v5, v12, vcc_lo
.LBB0_4:                                ;   in Loop: Header=BB0_2 Depth=1
	s_andn2_saveexec_b32 s0, s1
	s_cbranch_execz .LBB0_6
; %bb.5:                                ;   in Loop: Header=BB0_2 Depth=1
	v_cvt_f32_u32_e32 v3, s24
	s_sub_i32 s1, 0, s24
	v_rcp_iflag_f32_e32 v3, v3
	v_mul_f32_e32 v3, 0x4f7ffffe, v3
	v_cvt_u32_f32_e32 v3, v3
	v_mul_lo_u32 v4, s1, v3
	v_mul_hi_u32 v4, v3, v4
	v_add_nc_u32_e32 v3, v3, v4
	v_mul_hi_u32 v3, v10, v3
	v_mul_lo_u32 v4, v3, s24
	v_add_nc_u32_e32 v5, 1, v3
	v_sub_nc_u32_e32 v4, v10, v4
	v_subrev_nc_u32_e32 v9, s24, v4
	v_cmp_le_u32_e32 vcc_lo, s24, v4
	v_cndmask_b32_e32 v4, v4, v9, vcc_lo
	v_cndmask_b32_e32 v3, v3, v5, vcc_lo
	v_cmp_le_u32_e32 vcc_lo, s24, v4
	v_add_nc_u32_e32 v5, 1, v3
	v_mov_b32_e32 v4, v8
	v_cndmask_b32_e32 v3, v3, v5, vcc_lo
.LBB0_6:                                ;   in Loop: Header=BB0_2 Depth=1
	s_or_b32 exec_lo, exec_lo, s0
	v_mul_lo_u32 v5, v4, s24
	v_mul_lo_u32 v9, v3, s25
	s_load_dwordx2 s[0:1], s[6:7], 0x0
	v_mad_u64_u32 v[12:13], null, v3, s24, 0
	s_load_dwordx2 s[24:25], s[2:3], 0x0
	s_add_u32 s22, s22, 1
	s_addc_u32 s23, s23, 0
	s_add_u32 s2, s2, 8
	s_addc_u32 s3, s3, 0
	s_add_u32 s6, s6, 8
	v_add3_u32 v5, v13, v9, v5
	v_sub_co_u32 v9, vcc_lo, v10, v12
	s_addc_u32 s7, s7, 0
	s_add_u32 s20, s20, 8
	v_sub_co_ci_u32_e32 v5, vcc_lo, v11, v5, vcc_lo
	s_addc_u32 s21, s21, 0
	s_waitcnt lgkmcnt(0)
	v_mul_lo_u32 v10, s0, v5
	v_mul_lo_u32 v11, s1, v9
	v_mad_u64_u32 v[6:7], null, s0, v9, v[6:7]
	v_mul_lo_u32 v5, s24, v5
	v_mul_lo_u32 v12, s25, v9
	v_mad_u64_u32 v[1:2], null, s24, v9, v[1:2]
	v_cmp_ge_u64_e64 s0, s[22:23], s[14:15]
	v_add3_u32 v7, v11, v7, v10
	v_add3_u32 v2, v12, v2, v5
	s_and_b32 vcc_lo, exec_lo, s0
	s_cbranch_vccnz .LBB0_9
; %bb.7:                                ;   in Loop: Header=BB0_2 Depth=1
	v_mov_b32_e32 v11, v4
	v_mov_b32_e32 v10, v3
	s_branch .LBB0_2
.LBB0_8:
	v_mov_b32_e32 v1, v6
	v_mov_b32_e32 v3, v10
	;; [unrolled: 1-line block ×4, first 2 shown]
.LBB0_9:
	s_load_dwordx2 s[0:1], s[4:5], 0x28
	s_lshl_b64 s[4:5], s[14:15], 3
                                        ; implicit-def: $vgpr5
	s_add_u32 s2, s18, s4
	s_addc_u32 s3, s19, s5
	s_waitcnt lgkmcnt(0)
	v_cmp_gt_u64_e32 vcc_lo, s[0:1], v[3:4]
	v_cmp_le_u64_e64 s0, s[0:1], v[3:4]
	s_and_saveexec_b32 s1, s0
	s_xor_b32 s0, exec_lo, s1
; %bb.10:
	v_mov_b32_e32 v5, v0
                                        ; implicit-def: $vgpr6_vgpr7
; %bb.11:
	s_or_saveexec_b32 s1, s0
	s_load_dwordx2 s[2:3], s[2:3], 0x0
	v_lshlrev_b32_e32 v9, 3, v0
	s_xor_b32 exec_lo, exec_lo, s1
	s_cbranch_execz .LBB0_15
; %bb.12:
	s_add_u32 s4, s16, s4
	s_addc_u32 s5, s17, s5
	v_or_b32_e32 v12, 0x800, v9
	s_load_dwordx2 s[4:5], s[4:5], 0x0
	v_or_b32_e32 v42, 0x1800, v9
	v_or_b32_e32 v14, 0x2000, v9
	;; [unrolled: 1-line block ×8, first 2 shown]
	v_add_nc_u32_e32 v45, 0, v9
	s_waitcnt lgkmcnt(0)
	v_mul_lo_u32 v5, s5, v3
	v_mul_lo_u32 v8, s4, v4
	v_mad_u64_u32 v[10:11], null, s4, v3, 0
	s_mov_b32 s4, exec_lo
	v_add3_u32 v11, v11, v8, v5
	v_lshlrev_b64 v[5:6], 3, v[6:7]
	v_lshlrev_b64 v[7:8], 3, v[10:11]
	v_or_b32_e32 v10, 0x1000, v9
	v_add_co_u32 v7, s0, s8, v7
	v_add_co_ci_u32_e64 v8, s0, s9, v8, s0
	v_add_co_u32 v40, s0, v7, v5
	v_add_co_ci_u32_e64 v41, s0, v8, v6, s0
	;; [unrolled: 2-line block ×9, first 2 shown]
	s_clause 0x6
	global_load_dwordx2 v[20:21], v[5:6], off
	global_load_dwordx2 v[22:23], v[7:8], off
	global_load_dwordx2 v[10:11], v[10:11], off
	global_load_dwordx2 v[12:13], v[12:13], off
	global_load_dwordx2 v[14:15], v[14:15], off
	global_load_dwordx2 v[16:17], v[16:17], off
	global_load_dwordx2 v[18:19], v[18:19], off
	v_or_b32_e32 v7, 0x4000, v9
	v_add_co_u32 v5, s0, v40, v43
	v_add_co_ci_u32_e64 v6, s0, 0, v41, s0
	v_add_co_u32 v7, s0, v40, v7
	v_add_co_ci_u32_e64 v8, s0, 0, v41, s0
	;; [unrolled: 2-line block ×4, first 2 shown]
	s_clause 0x3
	global_load_dwordx2 v[28:29], v[5:6], off
	global_load_dwordx2 v[30:31], v[7:8], off
	global_load_dwordx2 v[24:25], v[24:25], off
	global_load_dwordx2 v[26:27], v[26:27], off
	v_or_b32_e32 v5, 0x6000, v9
	v_add_co_u32 v32, s0, v40, v44
	v_or_b32_e32 v6, 0x6800, v9
	v_add_co_ci_u32_e64 v33, s0, 0, v41, s0
	v_add_co_u32 v34, s0, v40, v5
	v_or_b32_e32 v5, 0x7000, v9
	v_add_co_ci_u32_e64 v35, s0, 0, v41, s0
	;; [unrolled: 3-line block ×3, first 2 shown]
	v_add_co_u32 v38, s0, v40, v5
	v_add_co_ci_u32_e64 v39, s0, 0, v41, s0
	v_add_co_u32 v6, s0, v40, v8
	v_add_co_ci_u32_e64 v7, s0, 0, v41, s0
	s_clause 0x4
	global_load_dwordx2 v[32:33], v[32:33], off
	global_load_dwordx2 v[34:35], v[34:35], off
	;; [unrolled: 1-line block ×5, first 2 shown]
	v_mov_b32_e32 v5, v0
	v_add_nc_u32_e32 v8, 0, v8
	v_add_nc_u32_e32 v42, 0, v42
	;; [unrolled: 1-line block ×4, first 2 shown]
	s_waitcnt vmcnt(14)
	ds_write2st64_b64 v45, v[20:21], v[22:23] offset1:4
	s_waitcnt vmcnt(12)
	ds_write_b64 v42, v[12:13]
	s_waitcnt vmcnt(11)
	ds_write2st64_b64 v45, v[10:11], v[14:15] offset0:8 offset1:16
	s_waitcnt vmcnt(9)
	ds_write2st64_b64 v45, v[16:17], v[18:19] offset0:20 offset1:24
	s_waitcnt vmcnt(8)
	ds_write_b64 v43, v[28:29]
	s_waitcnt vmcnt(6)
	ds_write2st64_b64 v45, v[30:31], v[24:25] offset0:32 offset1:36
	s_waitcnt vmcnt(4)
	ds_write_b64 v44, v[32:33]
	s_waitcnt vmcnt(3)
	ds_write2st64_b64 v45, v[26:27], v[34:35] offset0:40 offset1:48
	s_waitcnt vmcnt(1)
	ds_write2st64_b64 v45, v[36:37], v[38:39] offset0:52 offset1:56
	s_waitcnt vmcnt(0)
	ds_write_b64 v8, v[40:41]
	v_cmpx_eq_u32_e32 0xff, v0
	s_cbranch_execz .LBB0_14
; %bb.13:
	global_load_dwordx2 v[6:7], v[6:7], off offset:8
	v_mov_b32_e32 v5, 0xff
	s_waitcnt vmcnt(0)
	ds_write_b64 v8, v[6:7] offset:8
.LBB0_14:
	s_or_b32 exec_lo, exec_lo, s4
.LBB0_15:
	s_or_b32 exec_lo, exec_lo, s1
	v_lshlrev_b32_e32 v6, 3, v5
	s_waitcnt lgkmcnt(0)
	s_barrier
	buffer_gl0_inv
	s_add_u32 s4, s12, 0x7f80
	v_add_nc_u32_e32 v10, 0, v6
	v_sub_nc_u32_e32 v11, 0, v6
	s_addc_u32 s5, s13, 0
	s_mov_b32 s1, exec_lo
	ds_read_b32 v6, v10
	ds_read_b32 v8, v11 offset:32768
	s_waitcnt lgkmcnt(0)
	v_add_f32_e32 v7, v8, v6
	v_sub_f32_e32 v8, v6, v8
	v_cmpx_ne_u32_e32 0, v5
	s_xor_b32 s1, exec_lo, s1
	s_cbranch_execz .LBB0_17
; %bb.16:
	v_mov_b32_e32 v6, 0
	v_lshlrev_b64 v[12:13], 3, v[5:6]
	v_add_co_u32 v12, s0, s4, v12
	v_add_co_ci_u32_e64 v13, s0, s5, v13, s0
	global_load_dwordx2 v[12:13], v[12:13], off
	ds_read_b32 v6, v11 offset:32772
	ds_read_b32 v14, v10 offset:4
	s_waitcnt lgkmcnt(0)
	v_add_f32_e32 v15, v6, v14
	v_sub_f32_e32 v16, v14, v6
	s_waitcnt vmcnt(0)
	v_fma_f32 v17, v8, v13, v7
	v_fma_f32 v14, v15, v13, v16
	v_fma_f32 v6, -v8, v13, v7
	v_fma_f32 v7, v15, v13, -v16
	v_fma_f32 v13, -v12, v15, v17
	v_fmac_f32_e32 v14, v8, v12
	v_fmac_f32_e32 v6, v12, v15
	;; [unrolled: 1-line block ×3, first 2 shown]
	ds_write_b64 v10, v[13:14]
	ds_write_b64 v11, v[6:7] offset:32768
                                        ; implicit-def: $vgpr7
.LBB0_17:
	s_andn2_saveexec_b32 s0, s1
	s_cbranch_execz .LBB0_19
; %bb.18:
	v_mov_b32_e32 v12, 0
	ds_write_b64 v10, v[7:8]
	ds_read_b64 v[6:7], v12 offset:16384
	s_waitcnt lgkmcnt(0)
	v_add_f32_e32 v6, v6, v6
	v_mul_f32_e32 v7, -2.0, v7
	ds_write_b64 v12, v[6:7] offset:16384
.LBB0_19:
	s_or_b32 exec_lo, exec_lo, s0
	v_or_b32_e32 v7, 0x100, v5
	v_mov_b32_e32 v8, 0
	v_or_b32_e32 v28, 0x1800, v9
	v_or_b32_e32 v29, 0x3800, v9
	v_and_b32_e32 v43, 15, v0
	v_mad_u32_u24 v44, 0x78, v5, v10
	v_lshlrev_b64 v[6:7], 3, v[7:8]
	s_clause 0x1
	global_load_dwordx2 v[16:17], v28, s[4:5]
	global_load_dwordx2 v[24:25], v29, s[4:5]
	v_mul_u32_u24_e32 v43, 15, v43
	v_lshl_or_b32 v0, v5, 4, v0
	v_add_nc_u32_e32 v9, 0, v9
	v_add_co_u32 v6, s0, s4, v6
	v_add_co_ci_u32_e64 v7, s0, s5, v7, s0
	v_lshlrev_b32_e32 v43, 3, v43
	v_and_b32_e32 v0, 0xf0f, v0
	global_load_dwordx2 v[12:13], v[6:7], off
	v_or_b32_e32 v7, 0x200, v5
	v_lshl_add_u32 v0, v0, 3, 0
	v_lshlrev_b64 v[6:7], 3, v[7:8]
	v_add_co_u32 v6, s0, s4, v6
	v_add_co_ci_u32_e64 v7, s0, s5, v7, s0
	global_load_dwordx2 v[14:15], v[6:7], off
	v_or_b32_e32 v7, 0x400, v5
	v_lshlrev_b64 v[6:7], 3, v[7:8]
	v_add_co_u32 v6, s0, s4, v6
	v_add_co_ci_u32_e64 v7, s0, s5, v7, s0
	global_load_dwordx2 v[18:19], v[6:7], off
	v_or_b32_e32 v7, 0x500, v5
	;; [unrolled: 5-line block ×3, first 2 shown]
	v_lshlrev_b64 v[6:7], 3, v[7:8]
	v_add_co_u32 v6, s0, s4, v6
	v_add_co_ci_u32_e64 v7, s0, s5, v7, s0
	global_load_dwordx2 v[22:23], v[6:7], off
	ds_read_b64 v[6:7], v10 offset:2048
	ds_read_b64 v[26:27], v11 offset:30720
	s_waitcnt lgkmcnt(0)
	v_add_f32_e32 v30, v6, v26
	v_add_f32_e32 v31, v27, v7
	v_sub_f32_e32 v32, v6, v26
	v_sub_f32_e32 v6, v7, v27
	s_waitcnt vmcnt(4)
	v_fma_f32 v33, v32, v13, v30
	v_fma_f32 v7, v31, v13, v6
	v_fma_f32 v26, -v32, v13, v30
	v_fma_f32 v27, v31, v13, -v6
	v_fma_f32 v6, -v12, v31, v33
	v_fmac_f32_e32 v7, v32, v12
	v_fmac_f32_e32 v26, v12, v31
	;; [unrolled: 1-line block ×3, first 2 shown]
	ds_write_b64 v10, v[6:7] offset:2048
	ds_write_b64 v11, v[26:27] offset:30720
	ds_read_b64 v[6:7], v10 offset:4096
	ds_read_b64 v[12:13], v11 offset:28672
	s_waitcnt lgkmcnt(0)
	v_add_f32_e32 v26, v6, v12
	v_add_f32_e32 v30, v13, v7
	v_sub_f32_e32 v6, v6, v12
	v_sub_f32_e32 v7, v7, v13
	s_waitcnt vmcnt(3)
	v_fma_f32 v12, v6, v15, v26
	v_fma_f32 v13, v30, v15, v7
	v_fma_f32 v26, -v6, v15, v26
	v_fma_f32 v27, v30, v15, -v7
	v_fma_f32 v12, -v14, v30, v12
	v_fmac_f32_e32 v13, v6, v14
	v_fmac_f32_e32 v26, v14, v30
	;; [unrolled: 1-line block ×3, first 2 shown]
	v_add_nc_u32_e32 v6, 0, v28
	ds_write_b64 v10, v[12:13] offset:4096
	ds_write_b64 v11, v[26:27] offset:28672
	ds_read_b64 v[12:13], v6
	ds_read_b64 v[14:15], v11 offset:26624
	s_waitcnt lgkmcnt(0)
	v_add_f32_e32 v7, v12, v14
	v_add_f32_e32 v26, v15, v13
	v_sub_f32_e32 v27, v12, v14
	v_sub_f32_e32 v12, v13, v15
	v_fma_f32 v28, v27, v17, v7
	v_fma_f32 v13, v26, v17, v12
	v_fma_f32 v14, -v27, v17, v7
	v_fma_f32 v15, v26, v17, -v12
	v_fma_f32 v12, -v16, v26, v28
	v_fmac_f32_e32 v13, v27, v16
	v_fmac_f32_e32 v14, v16, v26
	;; [unrolled: 1-line block ×3, first 2 shown]
	ds_write_b64 v6, v[12:13]
	ds_write_b64 v11, v[14:15] offset:26624
	ds_read_b64 v[12:13], v10 offset:8192
	ds_read_b64 v[14:15], v11 offset:24576
	s_waitcnt lgkmcnt(0)
	v_add_f32_e32 v7, v12, v14
	v_add_f32_e32 v16, v15, v13
	v_sub_f32_e32 v17, v12, v14
	v_sub_f32_e32 v12, v13, v15
	s_waitcnt vmcnt(2)
	v_fma_f32 v26, v17, v19, v7
	v_fma_f32 v13, v16, v19, v12
	v_fma_f32 v14, -v17, v19, v7
	v_fma_f32 v15, v16, v19, -v12
	v_fma_f32 v12, -v18, v16, v26
	v_fmac_f32_e32 v13, v17, v18
	v_fmac_f32_e32 v14, v18, v16
	;; [unrolled: 1-line block ×3, first 2 shown]
	ds_write_b64 v10, v[12:13] offset:8192
	ds_write_b64 v11, v[14:15] offset:24576
	ds_read_b64 v[12:13], v10 offset:10240
	ds_read_b64 v[14:15], v11 offset:22528
	s_waitcnt lgkmcnt(0)
	v_add_f32_e32 v7, v12, v14
	v_add_f32_e32 v16, v15, v13
	v_sub_f32_e32 v17, v12, v14
	v_sub_f32_e32 v12, v13, v15
	s_waitcnt vmcnt(1)
	v_fma_f32 v18, v17, v21, v7
	v_fma_f32 v13, v16, v21, v12
	v_fma_f32 v14, -v17, v21, v7
	v_fma_f32 v15, v16, v21, -v12
	v_fma_f32 v12, -v20, v16, v18
	v_fmac_f32_e32 v13, v17, v20
	v_fmac_f32_e32 v14, v20, v16
	v_fmac_f32_e32 v15, v17, v20
	ds_write_b64 v10, v[12:13] offset:10240
	ds_write_b64 v11, v[14:15] offset:22528
	ds_read_b64 v[12:13], v10 offset:12288
	ds_read_b64 v[14:15], v11 offset:20480
	s_waitcnt lgkmcnt(0)
	v_add_f32_e32 v7, v12, v14
	v_add_f32_e32 v16, v15, v13
	v_sub_f32_e32 v17, v12, v14
	v_sub_f32_e32 v12, v13, v15
	s_waitcnt vmcnt(0)
	v_fma_f32 v18, v17, v23, v7
	v_fma_f32 v13, v16, v23, v12
	v_fma_f32 v14, -v17, v23, v7
	v_fma_f32 v15, v16, v23, -v12
	v_add_nc_u32_e32 v7, 0, v29
	v_fma_f32 v12, -v22, v16, v18
	v_fmac_f32_e32 v13, v17, v22
	v_fmac_f32_e32 v14, v22, v16
	;; [unrolled: 1-line block ×3, first 2 shown]
	ds_write_b64 v10, v[12:13] offset:12288
	ds_write_b64 v11, v[14:15] offset:20480
	ds_read_b64 v[12:13], v7
	ds_read_b64 v[14:15], v11 offset:18432
	s_waitcnt lgkmcnt(0)
	v_add_f32_e32 v16, v12, v14
	v_add_f32_e32 v17, v15, v13
	v_sub_f32_e32 v18, v12, v14
	v_sub_f32_e32 v12, v13, v15
	v_fma_f32 v19, v18, v25, v16
	v_fma_f32 v13, v17, v25, v12
	v_fma_f32 v14, -v18, v25, v16
	v_fma_f32 v15, v17, v25, -v12
	v_fma_f32 v12, -v24, v17, v19
	v_fmac_f32_e32 v13, v18, v24
	v_fmac_f32_e32 v14, v24, v17
	;; [unrolled: 1-line block ×3, first 2 shown]
	ds_write_b64 v7, v[12:13]
	ds_write_b64 v11, v[14:15] offset:18432
	s_waitcnt lgkmcnt(0)
	s_barrier
	buffer_gl0_inv
	s_barrier
	buffer_gl0_inv
	ds_read2st64_b64 v[11:14], v10 offset1:4
	ds_read2st64_b64 v[15:18], v10 offset0:32 offset1:36
	ds_read2st64_b64 v[19:22], v10 offset0:16 offset1:20
	;; [unrolled: 1-line block ×7, first 2 shown]
	s_waitcnt lgkmcnt(0)
	s_barrier
	buffer_gl0_inv
	v_sub_f32_e32 v15, v11, v15
	v_sub_f32_e32 v16, v12, v16
	v_sub_f32_e32 v23, v19, v23
	v_sub_f32_e32 v24, v20, v24
	v_sub_f32_e32 v31, v27, v31
	v_sub_f32_e32 v32, v28, v32
	v_sub_f32_e32 v39, v35, v39
	v_sub_f32_e32 v40, v36, v40
	v_sub_f32_e32 v17, v13, v17
	v_sub_f32_e32 v18, v14, v18
	v_sub_f32_e32 v25, v21, v25
	v_sub_f32_e32 v26, v22, v26
	v_sub_f32_e32 v33, v29, v33
	v_sub_f32_e32 v34, v30, v34
	v_sub_f32_e32 v41, v37, v41
	v_sub_f32_e32 v42, v38, v42
	v_fma_f32 v11, v11, 2.0, -v15
	v_fma_f32 v12, v12, 2.0, -v16
	;; [unrolled: 1-line block ×16, first 2 shown]
	v_add_f32_e32 v24, v15, v24
	v_sub_f32_e32 v23, v16, v23
	v_add_f32_e32 v40, v31, v40
	v_sub_f32_e32 v39, v32, v39
	;; [unrolled: 2-line block ×4, first 2 shown]
	v_sub_f32_e32 v19, v11, v19
	v_sub_f32_e32 v20, v12, v20
	v_fma_f32 v15, v15, 2.0, -v24
	v_fma_f32 v16, v16, 2.0, -v23
	v_sub_f32_e32 v35, v27, v35
	v_sub_f32_e32 v36, v28, v36
	v_fma_f32 v31, v31, 2.0, -v40
	v_fma_f32 v32, v32, 2.0, -v39
	;; [unrolled: 4-line block ×4, first 2 shown]
	v_fmamk_f32 v45, v40, 0x3f3504f3, v24
	v_fmamk_f32 v46, v39, 0x3f3504f3, v23
	;; [unrolled: 1-line block ×4, first 2 shown]
	v_fma_f32 v49, v11, 2.0, -v19
	v_fma_f32 v50, v12, 2.0, -v20
	;; [unrolled: 1-line block ×8, first 2 shown]
	v_fmamk_f32 v51, v31, 0xbf3504f3, v15
	v_fmamk_f32 v52, v32, 0xbf3504f3, v16
	v_add_f32_e32 v29, v19, v36
	v_sub_f32_e32 v30, v20, v35
	v_fmamk_f32 v35, v33, 0xbf3504f3, v17
	v_fmamk_f32 v36, v34, 0xbf3504f3, v18
	v_fmac_f32_e32 v45, 0x3f3504f3, v39
	v_fmac_f32_e32 v46, 0xbf3504f3, v40
	v_add_f32_e32 v38, v21, v38
	v_sub_f32_e32 v37, v22, v37
	v_fmac_f32_e32 v47, 0x3f3504f3, v41
	v_fmac_f32_e32 v48, 0xbf3504f3, v42
	;; [unrolled: 1-line block ×6, first 2 shown]
	v_fma_f32 v41, v19, 2.0, -v29
	v_fma_f32 v42, v20, 2.0, -v30
	;; [unrolled: 1-line block ×8, first 2 shown]
	v_sub_f32_e32 v39, v49, v11
	v_sub_f32_e32 v40, v50, v12
	;; [unrolled: 1-line block ×4, first 2 shown]
	v_fmamk_f32 v11, v38, 0x3f3504f3, v29
	v_fmamk_f32 v12, v37, 0x3f3504f3, v30
	;; [unrolled: 1-line block ×4, first 2 shown]
	v_fma_f32 v55, v15, 2.0, -v51
	v_fma_f32 v56, v16, 2.0, -v52
	;; [unrolled: 1-line block ×4, first 2 shown]
	v_fmamk_f32 v15, v31, 0xbf3504f3, v41
	v_fmamk_f32 v16, v32, 0xbf3504f3, v42
	;; [unrolled: 1-line block ×6, first 2 shown]
	v_fma_f32 v49, v49, 2.0, -v39
	v_fma_f32 v50, v50, 2.0, -v40
	;; [unrolled: 1-line block ×4, first 2 shown]
	v_fmac_f32_e32 v11, 0x3f3504f3, v37
	v_fmac_f32_e32 v12, 0xbf3504f3, v38
	v_fmac_f32_e32 v13, 0x3ec3ef15, v48
	v_fmac_f32_e32 v14, 0xbec3ef15, v47
	v_fmamk_f32 v25, v57, 0xbf6c835e, v55
	v_fmamk_f32 v26, v58, 0xbf6c835e, v56
	v_fmac_f32_e32 v15, 0x3f3504f3, v32
	v_fmac_f32_e32 v16, 0xbf3504f3, v31
	;; [unrolled: 1-line block ×4, first 2 shown]
	v_add_f32_e32 v19, v39, v19
	v_sub_f32_e32 v20, v40, v20
	v_fmac_f32_e32 v21, 0x3f6c835e, v36
	v_fmac_f32_e32 v22, 0xbf6c835e, v35
	v_sub_f32_e32 v23, v49, v23
	v_sub_f32_e32 v24, v50, v24
	v_fma_f32 v29, v29, 2.0, -v11
	v_fma_f32 v30, v30, 2.0, -v12
	;; [unrolled: 1-line block ×4, first 2 shown]
	v_fmac_f32_e32 v25, 0x3ec3ef15, v58
	v_fmac_f32_e32 v26, 0xbec3ef15, v57
	ds_write2_b64 v44, v[11:12], v[13:14] offset0:14 offset1:15
	v_fma_f32 v13, v41, 2.0, -v15
	v_fma_f32 v14, v42, 2.0, -v16
	;; [unrolled: 1-line block ×10, first 2 shown]
	ds_write2_b64 v44, v[29:30], v[31:32] offset0:6 offset1:7
	ds_write2_b64 v44, v[15:16], v[17:18] offset0:10 offset1:11
	v_fma_f32 v15, v55, 2.0, -v25
	v_fma_f32 v16, v56, 2.0, -v26
	ds_write2_b64 v44, v[19:20], v[21:22] offset0:12 offset1:13
	ds_write2_b64 v44, v[13:14], v[33:34] offset0:2 offset1:3
	;; [unrolled: 1-line block ×4, first 2 shown]
	ds_write2_b64 v44, v[11:12], v[15:16] offset1:1
	s_waitcnt lgkmcnt(0)
	s_barrier
	buffer_gl0_inv
	s_clause 0x7
	global_load_dwordx4 v[11:14], v43, s[12:13]
	global_load_dwordx4 v[15:18], v43, s[12:13] offset:16
	global_load_dwordx4 v[19:22], v43, s[12:13] offset:32
	;; [unrolled: 1-line block ×6, first 2 shown]
	global_load_dwordx2 v[55:56], v43, s[12:13] offset:112
	ds_read2st64_b64 v[39:42], v10 offset1:4
	ds_read2st64_b64 v[43:46], v10 offset0:8 offset1:12
	ds_read2st64_b64 v[47:50], v10 offset0:16 offset1:20
	;; [unrolled: 1-line block ×3, first 2 shown]
	s_waitcnt vmcnt(7) lgkmcnt(3)
	v_mul_f32_e32 v57, v12, v42
	v_mul_f32_e32 v12, v12, v41
	s_waitcnt lgkmcnt(2)
	v_mul_f32_e32 v58, v14, v44
	v_mul_f32_e32 v14, v14, v43
	s_waitcnt vmcnt(6)
	v_mul_f32_e32 v59, v16, v46
	v_fmac_f32_e32 v57, v11, v41
	v_fma_f32 v41, v11, v42, -v12
	v_mul_f32_e32 v11, v16, v45
	v_fmac_f32_e32 v58, v13, v43
	v_fma_f32 v42, v13, v44, -v14
	v_fmac_f32_e32 v59, v15, v45
	s_waitcnt lgkmcnt(1)
	v_mul_f32_e32 v44, v18, v48
	v_fma_f32 v43, v15, v46, -v11
	ds_read2st64_b64 v[11:14], v10 offset0:32 offset1:36
	v_mul_f32_e32 v15, v18, v47
	s_waitcnt vmcnt(5)
	v_mul_f32_e32 v45, v50, v20
	v_fmac_f32_e32 v44, v17, v47
	s_waitcnt lgkmcnt(1)
	v_mul_f32_e32 v47, v52, v22
	v_fma_f32 v46, v17, v48, -v15
	v_mul_f32_e32 v15, v49, v20
	v_mul_f32_e32 v20, v51, v22
	v_fmac_f32_e32 v45, v49, v19
	s_waitcnt vmcnt(4)
	v_mul_f32_e32 v49, v54, v24
	v_fmac_f32_e32 v47, v51, v21
	v_fma_f32 v48, v50, v19, -v15
	ds_read2st64_b64 v[15:18], v10 offset0:40 offset1:44
	v_mul_f32_e32 v19, v53, v24
	v_fma_f32 v50, v52, v21, -v20
	v_fmac_f32_e32 v49, v53, v23
	v_fma_f32 v23, v54, v23, -v19
	s_waitcnt lgkmcnt(1)
	v_mul_f32_e32 v24, v12, v26
	v_mul_f32_e32 v26, v11, v26
	ds_read2st64_b64 v[19:22], v10 offset0:48 offset1:52
	s_waitcnt vmcnt(3)
	v_mul_f32_e32 v51, v14, v28
	v_fmac_f32_e32 v24, v11, v25
	v_mul_f32_e32 v11, v13, v28
	v_fma_f32 v25, v12, v25, -v26
	v_fmac_f32_e32 v51, v13, v27
	v_mul_u32_u24_e32 v26, 15, v5
	v_fma_f32 v27, v14, v27, -v11
	ds_read2st64_b64 v[11:14], v10 offset0:56 offset1:60
	s_waitcnt lgkmcnt(2)
	v_mul_f32_e32 v28, v15, v30
	v_lshlrev_b32_e32 v52, 3, v26
	v_mul_f32_e32 v26, v16, v30
	v_sub_f32_e32 v27, v41, v27
	s_waitcnt vmcnt(0) lgkmcnt(0)
	s_barrier
	buffer_gl0_inv
	v_fmac_f32_e32 v26, v15, v29
	v_fma_f32 v15, v16, v29, -v28
	v_mul_f32_e32 v16, v18, v32
	v_mul_f32_e32 v28, v17, v32
	;; [unrolled: 1-line block ×4, first 2 shown]
	v_sub_f32_e32 v15, v42, v15
	v_fmac_f32_e32 v16, v17, v31
	v_fma_f32 v17, v18, v31, -v28
	v_mul_f32_e32 v18, v22, v36
	v_mul_f32_e32 v28, v21, v36
	v_fmac_f32_e32 v29, v19, v33
	v_mul_f32_e32 v31, v12, v38
	v_mul_f32_e32 v32, v11, v38
	v_fma_f32 v19, v20, v33, -v30
	v_mul_f32_e32 v20, v14, v56
	v_mul_f32_e32 v30, v13, v56
	v_fmac_f32_e32 v18, v21, v35
	v_fma_f32 v21, v22, v35, -v28
	v_fmac_f32_e32 v31, v11, v37
	v_fma_f32 v11, v12, v37, -v32
	v_fmac_f32_e32 v20, v13, v55
	v_fma_f32 v12, v14, v55, -v30
	v_sub_f32_e32 v13, v39, v24
	v_sub_f32_e32 v14, v40, v25
	;; [unrolled: 1-line block ×14, first 2 shown]
	v_fma_f32 v28, v39, 2.0, -v13
	v_fma_f32 v29, v40, 2.0, -v14
	;; [unrolled: 1-line block ×16, first 2 shown]
	v_add_f32_e32 v19, v13, v19
	v_sub_f32_e32 v22, v14, v22
	v_add_f32_e32 v11, v24, v11
	v_sub_f32_e32 v25, v15, v25
	v_add_f32_e32 v21, v26, v21
	v_sub_f32_e32 v18, v27, v18
	v_add_f32_e32 v12, v16, v12
	v_sub_f32_e32 v20, v17, v20
	v_sub_f32_e32 v30, v28, v30
	v_fma_f32 v43, v13, 2.0, -v19
	v_fma_f32 v44, v14, 2.0, -v22
	v_sub_f32_e32 v13, v32, v34
	v_sub_f32_e32 v14, v33, v35
	v_fma_f32 v24, v24, 2.0, -v11
	v_fma_f32 v15, v15, 2.0, -v25
	v_sub_f32_e32 v34, v36, v38
	;; [unrolled: 4-line block ×3, first 2 shown]
	v_sub_f32_e32 v23, v41, v23
	v_fma_f32 v16, v16, 2.0, -v12
	v_fma_f32 v17, v17, 2.0, -v20
	v_fmamk_f32 v39, v11, 0x3f3504f3, v19
	v_sub_f32_e32 v31, v29, v31
	v_fmamk_f32 v42, v25, 0x3f3504f3, v22
	v_fmamk_f32 v45, v12, 0x3f3504f3, v21
	;; [unrolled: 1-line block ×3, first 2 shown]
	v_fma_f32 v28, v28, 2.0, -v30
	v_fma_f32 v32, v32, 2.0, -v13
	;; [unrolled: 1-line block ×6, first 2 shown]
	v_fmamk_f32 v47, v24, 0xbf3504f3, v43
	v_fmamk_f32 v48, v15, 0xbf3504f3, v44
	v_fmac_f32_e32 v39, 0x3f3504f3, v25
	v_fmamk_f32 v51, v16, 0xbf3504f3, v26
	v_fmamk_f32 v53, v17, 0xbf3504f3, v27
	v_add_f32_e32 v49, v30, v14
	v_sub_f32_e32 v50, v31, v13
	v_fmac_f32_e32 v42, 0xbf3504f3, v11
	v_add_f32_e32 v23, v34, v23
	v_sub_f32_e32 v25, v35, v38
	v_fmac_f32_e32 v45, 0x3f3504f3, v20
	v_fmac_f32_e32 v46, 0xbf3504f3, v12
	v_fma_f32 v29, v29, 2.0, -v31
	v_fma_f32 v33, v33, 2.0, -v14
	v_sub_f32_e32 v32, v28, v32
	v_fmac_f32_e32 v47, 0x3f3504f3, v15
	v_fmac_f32_e32 v48, 0xbf3504f3, v24
	v_fma_f32 v55, v19, 2.0, -v39
	v_sub_f32_e32 v20, v36, v40
	v_sub_f32_e32 v19, v37, v41
	v_fmac_f32_e32 v51, 0x3f3504f3, v17
	v_fmac_f32_e32 v53, 0xbf3504f3, v16
	v_fma_f32 v38, v30, 2.0, -v49
	v_fma_f32 v54, v31, 2.0, -v50
	;; [unrolled: 1-line block ×7, first 2 shown]
	v_sub_f32_e32 v33, v29, v33
	v_fmamk_f32 v11, v23, 0x3f3504f3, v49
	v_fmamk_f32 v12, v25, 0x3f3504f3, v50
	;; [unrolled: 1-line block ×4, first 2 shown]
	v_fma_f32 v40, v28, 2.0, -v32
	v_fma_f32 v43, v43, 2.0, -v47
	;; [unrolled: 1-line block ×7, first 2 shown]
	v_fmamk_f32 v15, v30, 0xbf3504f3, v38
	v_fmamk_f32 v16, v31, 0xbf3504f3, v54
	;; [unrolled: 1-line block ×6, first 2 shown]
	v_fma_f32 v41, v29, 2.0, -v33
	v_add_f32_e32 v19, v32, v19
	v_fmac_f32_e32 v11, 0x3f3504f3, v25
	v_fmac_f32_e32 v12, 0xbf3504f3, v23
	;; [unrolled: 1-line block ×4, first 2 shown]
	v_fmamk_f32 v25, v36, 0xbf6c835e, v43
	v_fmamk_f32 v26, v37, 0xbf6c835e, v44
	v_sub_f32_e32 v20, v33, v20
	v_fmac_f32_e32 v15, 0x3f3504f3, v31
	v_fmac_f32_e32 v16, 0xbf3504f3, v30
	;; [unrolled: 1-line block ×6, first 2 shown]
	v_sub_f32_e32 v23, v40, v24
	v_sub_f32_e32 v24, v41, v28
	v_fma_f32 v27, v32, 2.0, -v19
	v_fma_f32 v29, v49, 2.0, -v11
	v_fma_f32 v30, v50, 2.0, -v12
	v_fma_f32 v31, v39, 2.0, -v13
	v_fma_f32 v32, v42, 2.0, -v14
	v_fmac_f32_e32 v25, 0x3ec3ef15, v37
	v_fmac_f32_e32 v26, 0xbec3ef15, v36
	v_fma_f32 v28, v33, 2.0, -v20
	ds_write2_b64 v0, v[11:12], v[13:14] offset0:224 offset1:240
	v_fma_f32 v13, v38, 2.0, -v15
	v_fma_f32 v14, v54, 2.0, -v16
	;; [unrolled: 1-line block ×8, first 2 shown]
	ds_write2_b64 v0, v[29:30], v[31:32] offset0:96 offset1:112
	ds_write2_b64 v0, v[15:16], v[17:18] offset0:160 offset1:176
	v_fma_f32 v15, v43, 2.0, -v25
	v_fma_f32 v16, v44, 2.0, -v26
	ds_write2_b64 v0, v[19:20], v[21:22] offset0:192 offset1:208
	ds_write2_b64 v0, v[13:14], v[33:34] offset0:32 offset1:48
	;; [unrolled: 1-line block ×4, first 2 shown]
	ds_write2_b64 v0, v[11:12], v[15:16] offset1:16
	s_waitcnt lgkmcnt(0)
	s_barrier
	buffer_gl0_inv
	s_clause 0x7
	global_load_dwordx4 v[11:14], v52, s[12:13] offset:1920
	global_load_dwordx4 v[15:18], v52, s[12:13] offset:1936
	;; [unrolled: 1-line block ×7, first 2 shown]
	global_load_dwordx2 v[51:52], v52, s[12:13] offset:2032
	ds_read2st64_b64 v[39:42], v10 offset1:4
	ds_read2st64_b64 v[43:46], v10 offset0:8 offset1:12
	v_add_nc_u32_e32 v0, 0x2800, v10
	ds_read_b64 v[53:54], v10 offset:8192
	ds_read2_b32 v[55:56], v0 offset1:1
	ds_read2st64_b64 v[47:50], v10 offset0:24 offset1:28
	s_waitcnt vmcnt(7) lgkmcnt(4)
	v_mul_f32_e32 v0, v12, v42
	v_mul_f32_e32 v12, v12, v41
	s_waitcnt lgkmcnt(3)
	v_mul_f32_e32 v57, v14, v44
	v_mul_f32_e32 v14, v14, v43
	s_waitcnt vmcnt(6)
	v_mul_f32_e32 v58, v16, v46
	v_fmac_f32_e32 v0, v11, v41
	v_fma_f32 v41, v11, v42, -v12
	v_fmac_f32_e32 v57, v13, v43
	v_fma_f32 v42, v13, v44, -v14
	ds_read2st64_b64 v[11:14], v10 offset0:32 offset1:36
	v_mul_f32_e32 v16, v16, v45
	s_waitcnt lgkmcnt(3)
	v_mul_f32_e32 v44, v18, v54
	v_fmac_f32_e32 v58, v15, v45
	s_waitcnt vmcnt(5) lgkmcnt(2)
	v_mul_f32_e32 v45, v56, v20
	v_mul_f32_e32 v20, v20, v55
	v_fma_f32 v43, v15, v46, -v16
	v_mul_f32_e32 v15, v18, v53
	v_fmac_f32_e32 v44, v17, v53
	s_waitcnt lgkmcnt(1)
	v_mul_f32_e32 v53, v48, v22
	v_mul_f32_e32 v22, v47, v22
	v_fmac_f32_e32 v45, v19, v55
	v_fma_f32 v46, v17, v54, -v15
	ds_read2st64_b64 v[15:18], v10 offset0:40 offset1:44
	v_fma_f32 v54, v56, v19, -v20
	s_waitcnt vmcnt(4)
	v_mul_f32_e32 v55, v50, v24
	v_mul_f32_e32 v19, v49, v24
	v_fmac_f32_e32 v53, v47, v21
	v_fma_f32 v47, v48, v21, -v22
	s_waitcnt lgkmcnt(1)
	v_mul_f32_e32 v48, v12, v26
	v_mul_f32_e32 v24, v11, v26
	v_fmac_f32_e32 v55, v49, v23
	v_fma_f32 v49, v50, v23, -v19
	ds_read2st64_b64 v[19:22], v10 offset0:48 offset1:52
	v_fmac_f32_e32 v48, v11, v25
	v_fma_f32 v11, v12, v25, -v24
	ds_read2st64_b64 v[23:26], v10 offset0:56 offset1:60
	s_waitcnt vmcnt(3)
	v_mul_f32_e32 v12, v14, v28
	v_mul_f32_e32 v28, v13, v28
	s_waitcnt vmcnt(0) lgkmcnt(0)
	v_sub_f32_e32 v11, v40, v11
	s_barrier
	v_fmac_f32_e32 v12, v13, v27
	v_fma_f32 v13, v14, v27, -v28
	v_mul_f32_e32 v14, v16, v30
	v_mul_f32_e32 v27, v15, v30
	;; [unrolled: 1-line block ×4, first 2 shown]
	v_sub_f32_e32 v12, v0, v12
	v_fmac_f32_e32 v14, v15, v29
	v_fma_f32 v15, v16, v29, -v27
	v_fmac_f32_e32 v28, v17, v31
	v_fma_f32 v17, v18, v31, -v30
	v_mul_f32_e32 v16, v20, v34
	v_mul_f32_e32 v27, v19, v34
	v_mul_f32_e32 v29, v22, v36
	v_mul_f32_e32 v32, v21, v36
	v_mul_f32_e32 v18, v24, v38
	v_mul_f32_e32 v30, v23, v38
	v_mul_f32_e32 v31, v26, v52
	v_mul_f32_e32 v34, v25, v52
	v_fmac_f32_e32 v16, v19, v33
	v_fma_f32 v19, v20, v33, -v27
	v_fmac_f32_e32 v29, v21, v35
	v_fma_f32 v20, v22, v35, -v32
	;; [unrolled: 2-line block ×4, first 2 shown]
	v_sub_f32_e32 v23, v39, v48
	v_sub_f32_e32 v16, v44, v16
	;; [unrolled: 1-line block ×14, first 2 shown]
	v_fma_f32 v27, v39, 2.0, -v23
	v_fma_f32 v28, v40, 2.0, -v11
	;; [unrolled: 1-line block ×16, first 2 shown]
	v_add_f32_e32 v19, v23, v19
	v_sub_f32_e32 v16, v11, v16
	v_add_f32_e32 v21, v14, v21
	v_sub_f32_e32 v18, v15, v18
	;; [unrolled: 2-line block ×4, first 2 shown]
	v_fma_f32 v23, v23, 2.0, -v19
	v_fma_f32 v42, v11, 2.0, -v16
	v_sub_f32_e32 v11, v31, v33
	v_sub_f32_e32 v33, v32, v34
	v_fma_f32 v14, v14, 2.0, -v21
	v_fma_f32 v15, v15, 2.0, -v18
	v_sub_f32_e32 v34, v0, v36
	v_sub_f32_e32 v36, v35, v37
	;; [unrolled: 4-line block ×3, first 2 shown]
	v_fma_f32 v25, v25, 2.0, -v22
	v_fma_f32 v17, v17, 2.0, -v26
	v_fmamk_f32 v40, v21, 0x3f3504f3, v19
	v_sub_f32_e32 v29, v27, v29
	v_sub_f32_e32 v30, v28, v30
	v_fmamk_f32 v45, v26, 0x3f3504f3, v24
	v_fma_f32 v35, v35, 2.0, -v36
	v_fma_f32 v39, v39, 2.0, -v13
	v_fmamk_f32 v46, v14, 0xbf3504f3, v23
	v_fmamk_f32 v47, v15, 0xbf3504f3, v42
	v_fmac_f32_e32 v40, 0x3f3504f3, v18
	v_fmamk_f32 v49, v25, 0xbf3504f3, v37
	v_fmamk_f32 v50, v17, 0xbf3504f3, v43
	;; [unrolled: 1-line block ×4, first 2 shown]
	v_fma_f32 v32, v32, 2.0, -v33
	v_add_f32_e32 v33, v29, v33
	v_sub_f32_e32 v48, v30, v11
	v_add_f32_e32 v51, v34, v13
	v_sub_f32_e32 v52, v36, v12
	v_fma_f32 v27, v27, 2.0, -v29
	v_fma_f32 v28, v28, 2.0, -v30
	;; [unrolled: 1-line block ×5, first 2 shown]
	v_fmac_f32_e32 v45, 0xbf3504f3, v22
	v_fmac_f32_e32 v46, 0x3f3504f3, v15
	;; [unrolled: 1-line block ×3, first 2 shown]
	v_fma_f32 v55, v19, 2.0, -v40
	v_sub_f32_e32 v19, v35, v39
	v_fmac_f32_e32 v49, 0x3f3504f3, v17
	v_fmac_f32_e32 v50, 0xbf3504f3, v25
	;; [unrolled: 1-line block ×4, first 2 shown]
	v_fma_f32 v53, v29, 2.0, -v33
	v_fma_f32 v54, v30, 2.0, -v48
	;; [unrolled: 1-line block ×4, first 2 shown]
	v_sub_f32_e32 v31, v27, v31
	v_sub_f32_e32 v32, v28, v32
	;; [unrolled: 1-line block ×3, first 2 shown]
	v_fma_f32 v36, v24, 2.0, -v45
	v_fma_f32 v57, v23, 2.0, -v46
	;; [unrolled: 1-line block ×8, first 2 shown]
	v_fmamk_f32 v15, v29, 0xbf3504f3, v53
	v_fmamk_f32 v16, v30, 0xbf3504f3, v54
	;; [unrolled: 1-line block ×4, first 2 shown]
	v_fma_f32 v38, v27, 2.0, -v31
	v_fma_f32 v39, v28, 2.0, -v32
	;; [unrolled: 1-line block ×3, first 2 shown]
	v_fmamk_f32 v25, v35, 0xbf6c835e, v57
	v_fmamk_f32 v26, v37, 0xbf6c835e, v42
	;; [unrolled: 1-line block ×4, first 2 shown]
	v_sub_f32_e32 v20, v32, v21
	v_fmamk_f32 v21, v49, 0x3ec3ef15, v46
	v_fmamk_f32 v22, v50, 0x3ec3ef15, v47
	;; [unrolled: 1-line block ×4, first 2 shown]
	v_fmac_f32_e32 v15, 0x3f3504f3, v30
	v_fmac_f32_e32 v16, 0xbf3504f3, v29
	v_add_f32_e32 v19, v31, v19
	v_fmac_f32_e32 v11, 0x3f3504f3, v52
	v_fmac_f32_e32 v13, 0x3ec3ef15, v45
	v_sub_f32_e32 v23, v38, v0
	v_sub_f32_e32 v24, v39, v24
	v_fmac_f32_e32 v25, 0x3ec3ef15, v37
	v_fmac_f32_e32 v26, 0xbec3ef15, v35
	v_fmac_f32_e32 v17, 0x3f6c835e, v36
	v_fmac_f32_e32 v18, 0xbf6c835e, v34
	v_fmac_f32_e32 v21, 0x3f6c835e, v50
	v_fmac_f32_e32 v22, 0xbf6c835e, v49
	v_fmac_f32_e32 v12, 0xbf3504f3, v51
	v_fmac_f32_e32 v14, 0xbec3ef15, v41
	v_fma_f32 v35, v53, 2.0, -v15
	v_fma_f32 v36, v54, 2.0, -v16
	;; [unrolled: 1-line block ×15, first 2 shown]
	buffer_gl0_inv
	v_fma_f32 v32, v44, 2.0, -v14
	ds_write_b64 v10, v[35:36] offset:4096
	ds_write2st64_b64 v10, v[33:34], v[39:40] offset1:4
	ds_write_b64 v6, v[37:38]
	ds_write2st64_b64 v10, v[27:28], v[41:42] offset0:16 offset1:20
	ds_write_b64 v10, v[29:30] offset:12288
	ds_write_b64 v7, v[31:32]
	ds_write2st64_b64 v10, v[23:24], v[25:26] offset0:32 offset1:36
	ds_write_b64 v10, v[15:16] offset:20480
	ds_write_b64 v9, v[17:18] offset:22528
	ds_write2st64_b64 v10, v[19:20], v[21:22] offset0:48 offset1:52
	ds_write_b64 v10, v[11:12] offset:28672
	ds_write_b64 v9, v[13:14] offset:30720
	s_waitcnt lgkmcnt(0)
	s_barrier
	buffer_gl0_inv
	s_and_saveexec_b32 s0, vcc_lo
	s_cbranch_execz .LBB0_21
; %bb.20:
	v_mul_lo_u32 v0, s3, v3
	v_mul_lo_u32 v6, s2, v4
	v_mad_u64_u32 v[3:4], null, s2, v3, 0
	v_lshl_add_u32 v25, v5, 3, 0
	v_lshlrev_b64 v[13:14], 3, v[1:2]
	v_add_nc_u32_e32 v7, 0x100, v5
	v_add3_u32 v4, v4, v6, v0
	v_mov_b32_e32 v6, v8
	v_lshlrev_b64 v[17:18], 3, v[7:8]
	v_add_nc_u32_e32 v7, 0x200, v5
	v_lshlrev_b64 v[9:10], 3, v[3:4]
	ds_read2st64_b64 v[0:3], v25 offset1:4
	v_lshlrev_b64 v[15:16], 3, v[5:6]
	v_add_co_u32 v4, vcc_lo, s10, v9
	v_add_co_ci_u32_e32 v6, vcc_lo, s11, v10, vcc_lo
	ds_read2st64_b64 v[9:12], v25 offset0:8 offset1:12
	v_add_co_u32 v26, vcc_lo, v4, v13
	v_add_co_ci_u32_e32 v27, vcc_lo, v6, v14, vcc_lo
	v_lshlrev_b64 v[13:14], 3, v[7:8]
	v_add_co_u32 v15, vcc_lo, v26, v15
	v_add_nc_u32_e32 v7, 0x300, v5
	v_add_co_ci_u32_e32 v16, vcc_lo, v27, v16, vcc_lo
	v_add_co_u32 v17, vcc_lo, v26, v17
	v_add_co_ci_u32_e32 v18, vcc_lo, v27, v18, vcc_lo
	v_add_co_u32 v13, vcc_lo, v26, v13
	v_lshlrev_b64 v[19:20], 3, v[7:8]
	v_add_nc_u32_e32 v7, 0x400, v5
	v_add_co_ci_u32_e32 v14, vcc_lo, v27, v14, vcc_lo
	s_waitcnt lgkmcnt(1)
	global_store_dwordx2 v[15:16], v[0:1], off
	global_store_dwordx2 v[17:18], v[2:3], off
	s_waitcnt lgkmcnt(0)
	global_store_dwordx2 v[13:14], v[9:10], off
	v_lshlrev_b64 v[9:10], 3, v[7:8]
	v_add_nc_u32_e32 v7, 0x500, v5
	ds_read2st64_b64 v[0:3], v25 offset0:16 offset1:20
	v_add_co_u32 v17, vcc_lo, v26, v19
	ds_read2st64_b64 v[13:16], v25 offset0:24 offset1:28
	v_add_co_ci_u32_e32 v18, vcc_lo, v27, v20, vcc_lo
	v_lshlrev_b64 v[19:20], 3, v[7:8]
	v_add_nc_u32_e32 v7, 0x600, v5
	v_add_co_u32 v9, vcc_lo, v26, v9
	v_add_co_ci_u32_e32 v10, vcc_lo, v27, v10, vcc_lo
	v_lshlrev_b64 v[21:22], 3, v[7:8]
	v_add_nc_u32_e32 v7, 0x700, v5
	v_add_co_u32 v19, vcc_lo, v26, v19
	;; [unrolled: 4-line block ×3, first 2 shown]
	v_add_co_ci_u32_e32 v22, vcc_lo, v27, v22, vcc_lo
	global_store_dwordx2 v[17:18], v[11:12], off
	s_waitcnt lgkmcnt(1)
	global_store_dwordx2 v[9:10], v[0:1], off
	global_store_dwordx2 v[19:20], v[2:3], off
	s_waitcnt lgkmcnt(0)
	global_store_dwordx2 v[21:22], v[13:14], off
	v_lshlrev_b64 v[13:14], 3, v[7:8]
	v_add_nc_u32_e32 v7, 0x900, v5
	ds_read2st64_b64 v[0:3], v25 offset0:32 offset1:36
	ds_read2st64_b64 v[9:12], v25 offset0:40 offset1:44
	v_add_co_u32 v17, vcc_lo, v26, v23
	v_lshlrev_b64 v[19:20], 3, v[7:8]
	v_add_nc_u32_e32 v7, 0xa00, v5
	v_add_co_ci_u32_e32 v18, vcc_lo, v27, v24, vcc_lo
	v_add_co_u32 v13, vcc_lo, v26, v13
	v_lshlrev_b64 v[21:22], 3, v[7:8]
	v_add_nc_u32_e32 v7, 0xb00, v5
	v_add_co_ci_u32_e32 v14, vcc_lo, v27, v14, vcc_lo
	v_add_co_u32 v19, vcc_lo, v26, v19
	v_add_co_ci_u32_e32 v20, vcc_lo, v27, v20, vcc_lo
	v_lshlrev_b64 v[23:24], 3, v[7:8]
	v_add_nc_u32_e32 v7, 0xc00, v5
	v_add_co_u32 v21, vcc_lo, v26, v21
	v_add_co_ci_u32_e32 v22, vcc_lo, v27, v22, vcc_lo
	global_store_dwordx2 v[17:18], v[15:16], off
	s_waitcnt lgkmcnt(1)
	global_store_dwordx2 v[13:14], v[0:1], off
	global_store_dwordx2 v[19:20], v[2:3], off
	s_waitcnt lgkmcnt(0)
	global_store_dwordx2 v[21:22], v[9:10], off
	v_lshlrev_b64 v[9:10], 3, v[7:8]
	v_add_nc_u32_e32 v7, 0xd00, v5
	ds_read2st64_b64 v[0:3], v25 offset0:48 offset1:52
	ds_read2st64_b64 v[13:16], v25 offset0:56 offset1:60
	v_add_co_u32 v17, vcc_lo, v26, v23
	v_lshlrev_b64 v[19:20], 3, v[7:8]
	v_add_nc_u32_e32 v7, 0xe00, v5
	v_add_co_ci_u32_e32 v18, vcc_lo, v27, v24, vcc_lo
	v_add_co_u32 v9, vcc_lo, v26, v9
	v_lshlrev_b64 v[21:22], 3, v[7:8]
	v_add_nc_u32_e32 v7, 0xf00, v5
	v_add_co_ci_u32_e32 v10, vcc_lo, v27, v10, vcc_lo
	v_add_co_u32 v4, vcc_lo, v26, v19
	v_lshlrev_b64 v[6:7], 3, v[7:8]
	v_add_co_ci_u32_e32 v5, vcc_lo, v27, v20, vcc_lo
	v_add_co_u32 v19, vcc_lo, v26, v21
	v_add_co_ci_u32_e32 v20, vcc_lo, v27, v22, vcc_lo
	v_add_co_u32 v6, vcc_lo, v26, v6
	v_add_co_ci_u32_e32 v7, vcc_lo, v27, v7, vcc_lo
	global_store_dwordx2 v[17:18], v[11:12], off
	s_waitcnt lgkmcnt(1)
	global_store_dwordx2 v[9:10], v[0:1], off
	global_store_dwordx2 v[4:5], v[2:3], off
	s_waitcnt lgkmcnt(0)
	global_store_dwordx2 v[19:20], v[13:14], off
	global_store_dwordx2 v[6:7], v[15:16], off
.LBB0_21:
	s_endpgm
	.section	.rodata,"a",@progbits
	.p2align	6, 0x0
	.amdhsa_kernel fft_rtc_back_len4096_factors_16_16_16_wgs_256_tpt_256_halfLds_sp_op_CI_CI_unitstride_sbrr_C2R_dirReg
		.amdhsa_group_segment_fixed_size 0
		.amdhsa_private_segment_fixed_size 0
		.amdhsa_kernarg_size 104
		.amdhsa_user_sgpr_count 6
		.amdhsa_user_sgpr_private_segment_buffer 1
		.amdhsa_user_sgpr_dispatch_ptr 0
		.amdhsa_user_sgpr_queue_ptr 0
		.amdhsa_user_sgpr_kernarg_segment_ptr 1
		.amdhsa_user_sgpr_dispatch_id 0
		.amdhsa_user_sgpr_flat_scratch_init 0
		.amdhsa_user_sgpr_private_segment_size 0
		.amdhsa_wavefront_size32 1
		.amdhsa_uses_dynamic_stack 0
		.amdhsa_system_sgpr_private_segment_wavefront_offset 0
		.amdhsa_system_sgpr_workgroup_id_x 1
		.amdhsa_system_sgpr_workgroup_id_y 0
		.amdhsa_system_sgpr_workgroup_id_z 0
		.amdhsa_system_sgpr_workgroup_info 0
		.amdhsa_system_vgpr_workitem_id 0
		.amdhsa_next_free_vgpr 60
		.amdhsa_next_free_sgpr 27
		.amdhsa_reserve_vcc 1
		.amdhsa_reserve_flat_scratch 0
		.amdhsa_float_round_mode_32 0
		.amdhsa_float_round_mode_16_64 0
		.amdhsa_float_denorm_mode_32 3
		.amdhsa_float_denorm_mode_16_64 3
		.amdhsa_dx10_clamp 1
		.amdhsa_ieee_mode 1
		.amdhsa_fp16_overflow 0
		.amdhsa_workgroup_processor_mode 1
		.amdhsa_memory_ordered 1
		.amdhsa_forward_progress 0
		.amdhsa_shared_vgpr_count 0
		.amdhsa_exception_fp_ieee_invalid_op 0
		.amdhsa_exception_fp_denorm_src 0
		.amdhsa_exception_fp_ieee_div_zero 0
		.amdhsa_exception_fp_ieee_overflow 0
		.amdhsa_exception_fp_ieee_underflow 0
		.amdhsa_exception_fp_ieee_inexact 0
		.amdhsa_exception_int_div_zero 0
	.end_amdhsa_kernel
	.text
.Lfunc_end0:
	.size	fft_rtc_back_len4096_factors_16_16_16_wgs_256_tpt_256_halfLds_sp_op_CI_CI_unitstride_sbrr_C2R_dirReg, .Lfunc_end0-fft_rtc_back_len4096_factors_16_16_16_wgs_256_tpt_256_halfLds_sp_op_CI_CI_unitstride_sbrr_C2R_dirReg
                                        ; -- End function
	.section	.AMDGPU.csdata,"",@progbits
; Kernel info:
; codeLenInByte = 8464
; NumSgprs: 29
; NumVgprs: 60
; ScratchSize: 0
; MemoryBound: 0
; FloatMode: 240
; IeeeMode: 1
; LDSByteSize: 0 bytes/workgroup (compile time only)
; SGPRBlocks: 3
; VGPRBlocks: 7
; NumSGPRsForWavesPerEU: 29
; NumVGPRsForWavesPerEU: 60
; Occupancy: 16
; WaveLimiterHint : 1
; COMPUTE_PGM_RSRC2:SCRATCH_EN: 0
; COMPUTE_PGM_RSRC2:USER_SGPR: 6
; COMPUTE_PGM_RSRC2:TRAP_HANDLER: 0
; COMPUTE_PGM_RSRC2:TGID_X_EN: 1
; COMPUTE_PGM_RSRC2:TGID_Y_EN: 0
; COMPUTE_PGM_RSRC2:TGID_Z_EN: 0
; COMPUTE_PGM_RSRC2:TIDIG_COMP_CNT: 0
	.text
	.p2alignl 6, 3214868480
	.fill 48, 4, 3214868480
	.type	__hip_cuid_957c8a02a1ea5668,@object ; @__hip_cuid_957c8a02a1ea5668
	.section	.bss,"aw",@nobits
	.globl	__hip_cuid_957c8a02a1ea5668
__hip_cuid_957c8a02a1ea5668:
	.byte	0                               ; 0x0
	.size	__hip_cuid_957c8a02a1ea5668, 1

	.ident	"AMD clang version 19.0.0git (https://github.com/RadeonOpenCompute/llvm-project roc-6.4.0 25133 c7fe45cf4b819c5991fe208aaa96edf142730f1d)"
	.section	".note.GNU-stack","",@progbits
	.addrsig
	.addrsig_sym __hip_cuid_957c8a02a1ea5668
	.amdgpu_metadata
---
amdhsa.kernels:
  - .args:
      - .actual_access:  read_only
        .address_space:  global
        .offset:         0
        .size:           8
        .value_kind:     global_buffer
      - .offset:         8
        .size:           8
        .value_kind:     by_value
      - .actual_access:  read_only
        .address_space:  global
        .offset:         16
        .size:           8
        .value_kind:     global_buffer
      - .actual_access:  read_only
        .address_space:  global
        .offset:         24
        .size:           8
        .value_kind:     global_buffer
      - .actual_access:  read_only
        .address_space:  global
        .offset:         32
        .size:           8
        .value_kind:     global_buffer
      - .offset:         40
        .size:           8
        .value_kind:     by_value
      - .actual_access:  read_only
        .address_space:  global
        .offset:         48
        .size:           8
        .value_kind:     global_buffer
      - .actual_access:  read_only
        .address_space:  global
        .offset:         56
        .size:           8
        .value_kind:     global_buffer
      - .offset:         64
        .size:           4
        .value_kind:     by_value
      - .actual_access:  read_only
        .address_space:  global
        .offset:         72
        .size:           8
        .value_kind:     global_buffer
      - .actual_access:  read_only
        .address_space:  global
        .offset:         80
        .size:           8
        .value_kind:     global_buffer
      - .actual_access:  read_only
        .address_space:  global
        .offset:         88
        .size:           8
        .value_kind:     global_buffer
      - .actual_access:  write_only
        .address_space:  global
        .offset:         96
        .size:           8
        .value_kind:     global_buffer
    .group_segment_fixed_size: 0
    .kernarg_segment_align: 8
    .kernarg_segment_size: 104
    .language:       OpenCL C
    .language_version:
      - 2
      - 0
    .max_flat_workgroup_size: 256
    .name:           fft_rtc_back_len4096_factors_16_16_16_wgs_256_tpt_256_halfLds_sp_op_CI_CI_unitstride_sbrr_C2R_dirReg
    .private_segment_fixed_size: 0
    .sgpr_count:     29
    .sgpr_spill_count: 0
    .symbol:         fft_rtc_back_len4096_factors_16_16_16_wgs_256_tpt_256_halfLds_sp_op_CI_CI_unitstride_sbrr_C2R_dirReg.kd
    .uniform_work_group_size: 1
    .uses_dynamic_stack: false
    .vgpr_count:     60
    .vgpr_spill_count: 0
    .wavefront_size: 32
    .workgroup_processor_mode: 1
amdhsa.target:   amdgcn-amd-amdhsa--gfx1030
amdhsa.version:
  - 1
  - 2
...

	.end_amdgpu_metadata
